;; amdgpu-corpus repo=ROCm/rocFFT kind=compiled arch=gfx1201 opt=O3
	.text
	.amdgcn_target "amdgcn-amd-amdhsa--gfx1201"
	.amdhsa_code_object_version 6
	.protected	fft_rtc_back_len891_factors_9_11_3_3_wgs_198_tpt_99_halfLds_sp_op_CI_CI_sbrr_dirReg ; -- Begin function fft_rtc_back_len891_factors_9_11_3_3_wgs_198_tpt_99_halfLds_sp_op_CI_CI_sbrr_dirReg
	.globl	fft_rtc_back_len891_factors_9_11_3_3_wgs_198_tpt_99_halfLds_sp_op_CI_CI_sbrr_dirReg
	.p2align	8
	.type	fft_rtc_back_len891_factors_9_11_3_3_wgs_198_tpt_99_halfLds_sp_op_CI_CI_sbrr_dirReg,@function
fft_rtc_back_len891_factors_9_11_3_3_wgs_198_tpt_99_halfLds_sp_op_CI_CI_sbrr_dirReg: ; @fft_rtc_back_len891_factors_9_11_3_3_wgs_198_tpt_99_halfLds_sp_op_CI_CI_sbrr_dirReg
; %bb.0:
	s_clause 0x2
	s_load_b128 s[12:15], s[0:1], 0x18
	s_load_b128 s[8:11], s[0:1], 0x0
	;; [unrolled: 1-line block ×3, first 2 shown]
	v_mul_u32_u24_e32 v1, 0x296, v0
	v_mov_b32_e32 v7, 0
	v_mov_b32_e32 v5, 0
	;; [unrolled: 1-line block ×3, first 2 shown]
	s_wait_kmcnt 0x0
	s_load_b64 s[18:19], s[12:13], 0x0
	s_load_b64 s[16:17], s[14:15], 0x0
	v_lshrrev_b32_e32 v11, 16, v1
	v_cmp_lt_u64_e64 s2, s[10:11], 2
	v_mov_b32_e32 v10, v7
	s_delay_alu instid0(VALU_DEP_3) | instskip(NEXT) | instid1(VALU_DEP_3)
	v_lshl_add_u32 v9, ttmp9, 1, v11
	s_and_b32 vcc_lo, exec_lo, s2
	s_cbranch_vccnz .LBB0_8
; %bb.1:
	s_load_b64 s[2:3], s[0:1], 0x10
	v_mov_b32_e32 v5, 0
	v_mov_b32_e32 v6, 0
	s_delay_alu instid0(VALU_DEP_2)
	v_mov_b32_e32 v1, v5
	s_add_nc_u64 s[20:21], s[14:15], 8
	s_add_nc_u64 s[22:23], s[12:13], 8
	s_mov_b64 s[24:25], 1
	v_mov_b32_e32 v2, v6
	s_wait_kmcnt 0x0
	s_add_nc_u64 s[26:27], s[2:3], 8
	s_mov_b32 s3, 0
.LBB0_2:                                ; =>This Inner Loop Header: Depth=1
	s_load_b64 s[28:29], s[26:27], 0x0
                                        ; implicit-def: $vgpr3_vgpr4
	s_mov_b32 s2, exec_lo
	s_wait_kmcnt 0x0
	v_or_b32_e32 v8, s29, v10
	s_delay_alu instid0(VALU_DEP_1)
	v_cmpx_ne_u64_e32 0, v[7:8]
	s_wait_alu 0xfffe
	s_xor_b32 s30, exec_lo, s2
	s_cbranch_execz .LBB0_4
; %bb.3:                                ;   in Loop: Header=BB0_2 Depth=1
	s_cvt_f32_u32 s2, s28
	s_cvt_f32_u32 s31, s29
	s_sub_nc_u64 s[36:37], 0, s[28:29]
	s_wait_alu 0xfffe
	s_delay_alu instid0(SALU_CYCLE_1) | instskip(SKIP_1) | instid1(SALU_CYCLE_2)
	s_fmamk_f32 s2, s31, 0x4f800000, s2
	s_wait_alu 0xfffe
	v_s_rcp_f32 s2, s2
	s_delay_alu instid0(TRANS32_DEP_1) | instskip(SKIP_1) | instid1(SALU_CYCLE_2)
	s_mul_f32 s2, s2, 0x5f7ffffc
	s_wait_alu 0xfffe
	s_mul_f32 s31, s2, 0x2f800000
	s_wait_alu 0xfffe
	s_delay_alu instid0(SALU_CYCLE_2) | instskip(SKIP_1) | instid1(SALU_CYCLE_2)
	s_trunc_f32 s31, s31
	s_wait_alu 0xfffe
	s_fmamk_f32 s2, s31, 0xcf800000, s2
	s_cvt_u32_f32 s35, s31
	s_wait_alu 0xfffe
	s_delay_alu instid0(SALU_CYCLE_1) | instskip(SKIP_1) | instid1(SALU_CYCLE_2)
	s_cvt_u32_f32 s34, s2
	s_wait_alu 0xfffe
	s_mul_u64 s[38:39], s[36:37], s[34:35]
	s_wait_alu 0xfffe
	s_mul_hi_u32 s41, s34, s39
	s_mul_i32 s40, s34, s39
	s_mul_hi_u32 s2, s34, s38
	s_mul_i32 s33, s35, s38
	s_wait_alu 0xfffe
	s_add_nc_u64 s[40:41], s[2:3], s[40:41]
	s_mul_hi_u32 s31, s35, s38
	s_mul_hi_u32 s42, s35, s39
	s_add_co_u32 s2, s40, s33
	s_wait_alu 0xfffe
	s_add_co_ci_u32 s2, s41, s31
	s_mul_i32 s38, s35, s39
	s_add_co_ci_u32 s39, s42, 0
	s_wait_alu 0xfffe
	s_add_nc_u64 s[38:39], s[2:3], s[38:39]
	s_wait_alu 0xfffe
	v_add_co_u32 v3, s2, s34, s38
	s_delay_alu instid0(VALU_DEP_1) | instskip(SKIP_1) | instid1(VALU_DEP_1)
	s_cmp_lg_u32 s2, 0
	s_add_co_ci_u32 s35, s35, s39
	v_readfirstlane_b32 s34, v3
	s_wait_alu 0xfffe
	s_delay_alu instid0(VALU_DEP_1)
	s_mul_u64 s[36:37], s[36:37], s[34:35]
	s_wait_alu 0xfffe
	s_mul_hi_u32 s39, s34, s37
	s_mul_i32 s38, s34, s37
	s_mul_hi_u32 s2, s34, s36
	s_mul_i32 s33, s35, s36
	s_wait_alu 0xfffe
	s_add_nc_u64 s[38:39], s[2:3], s[38:39]
	s_mul_hi_u32 s31, s35, s36
	s_mul_hi_u32 s34, s35, s37
	s_wait_alu 0xfffe
	s_add_co_u32 s2, s38, s33
	s_add_co_ci_u32 s2, s39, s31
	s_mul_i32 s36, s35, s37
	s_add_co_ci_u32 s37, s34, 0
	s_wait_alu 0xfffe
	s_add_nc_u64 s[36:37], s[2:3], s[36:37]
	s_wait_alu 0xfffe
	v_add_co_u32 v8, s2, v3, s36
	s_delay_alu instid0(VALU_DEP_1) | instskip(SKIP_1) | instid1(VALU_DEP_1)
	s_cmp_lg_u32 s2, 0
	s_add_co_ci_u32 s2, s35, s37
	v_mul_hi_u32 v16, v9, v8
	s_wait_alu 0xfffe
	v_mad_co_u64_u32 v[3:4], null, v9, s2, 0
	v_mad_co_u64_u32 v[12:13], null, v10, v8, 0
	;; [unrolled: 1-line block ×3, first 2 shown]
	s_delay_alu instid0(VALU_DEP_3) | instskip(SKIP_1) | instid1(VALU_DEP_4)
	v_add_co_u32 v3, vcc_lo, v16, v3
	s_wait_alu 0xfffd
	v_add_co_ci_u32_e32 v4, vcc_lo, 0, v4, vcc_lo
	s_delay_alu instid0(VALU_DEP_2) | instskip(SKIP_1) | instid1(VALU_DEP_2)
	v_add_co_u32 v3, vcc_lo, v3, v12
	s_wait_alu 0xfffd
	v_add_co_ci_u32_e32 v3, vcc_lo, v4, v13, vcc_lo
	s_wait_alu 0xfffd
	v_add_co_ci_u32_e32 v4, vcc_lo, 0, v15, vcc_lo
	s_delay_alu instid0(VALU_DEP_2) | instskip(SKIP_1) | instid1(VALU_DEP_2)
	v_add_co_u32 v8, vcc_lo, v3, v14
	s_wait_alu 0xfffd
	v_add_co_ci_u32_e32 v12, vcc_lo, 0, v4, vcc_lo
	s_delay_alu instid0(VALU_DEP_2) | instskip(SKIP_1) | instid1(VALU_DEP_3)
	v_mul_lo_u32 v13, s29, v8
	v_mad_co_u64_u32 v[3:4], null, s28, v8, 0
	v_mul_lo_u32 v14, s28, v12
	s_delay_alu instid0(VALU_DEP_2) | instskip(NEXT) | instid1(VALU_DEP_2)
	v_sub_co_u32 v3, vcc_lo, v9, v3
	v_add3_u32 v4, v4, v14, v13
	s_delay_alu instid0(VALU_DEP_1) | instskip(SKIP_1) | instid1(VALU_DEP_1)
	v_sub_nc_u32_e32 v13, v10, v4
	s_wait_alu 0xfffd
	v_subrev_co_ci_u32_e64 v13, s2, s29, v13, vcc_lo
	v_add_co_u32 v14, s2, v8, 2
	s_wait_alu 0xf1ff
	v_add_co_ci_u32_e64 v15, s2, 0, v12, s2
	v_sub_co_u32 v16, s2, v3, s28
	v_sub_co_ci_u32_e32 v4, vcc_lo, v10, v4, vcc_lo
	s_wait_alu 0xf1ff
	v_subrev_co_ci_u32_e64 v13, s2, 0, v13, s2
	s_delay_alu instid0(VALU_DEP_3) | instskip(NEXT) | instid1(VALU_DEP_3)
	v_cmp_le_u32_e32 vcc_lo, s28, v16
	v_cmp_eq_u32_e64 s2, s29, v4
	s_wait_alu 0xfffd
	v_cndmask_b32_e64 v16, 0, -1, vcc_lo
	v_cmp_le_u32_e32 vcc_lo, s29, v13
	s_wait_alu 0xfffd
	v_cndmask_b32_e64 v17, 0, -1, vcc_lo
	v_cmp_le_u32_e32 vcc_lo, s28, v3
	;; [unrolled: 3-line block ×3, first 2 shown]
	s_wait_alu 0xfffd
	v_cndmask_b32_e64 v18, 0, -1, vcc_lo
	v_cmp_eq_u32_e32 vcc_lo, s29, v13
	s_wait_alu 0xf1ff
	s_delay_alu instid0(VALU_DEP_2)
	v_cndmask_b32_e64 v3, v18, v3, s2
	s_wait_alu 0xfffd
	v_cndmask_b32_e32 v13, v17, v16, vcc_lo
	v_add_co_u32 v16, vcc_lo, v8, 1
	s_wait_alu 0xfffd
	v_add_co_ci_u32_e32 v17, vcc_lo, 0, v12, vcc_lo
	s_delay_alu instid0(VALU_DEP_3) | instskip(SKIP_1) | instid1(VALU_DEP_2)
	v_cmp_ne_u32_e32 vcc_lo, 0, v13
	s_wait_alu 0xfffd
	v_dual_cndmask_b32 v4, v17, v15 :: v_dual_cndmask_b32 v13, v16, v14
	v_cmp_ne_u32_e32 vcc_lo, 0, v3
	s_wait_alu 0xfffd
	s_delay_alu instid0(VALU_DEP_2) | instskip(NEXT) | instid1(VALU_DEP_3)
	v_cndmask_b32_e32 v4, v12, v4, vcc_lo
	v_cndmask_b32_e32 v3, v8, v13, vcc_lo
.LBB0_4:                                ;   in Loop: Header=BB0_2 Depth=1
	s_wait_alu 0xfffe
	s_and_not1_saveexec_b32 s2, s30
	s_cbranch_execz .LBB0_6
; %bb.5:                                ;   in Loop: Header=BB0_2 Depth=1
	v_cvt_f32_u32_e32 v3, s28
	s_sub_co_i32 s30, 0, s28
	s_delay_alu instid0(VALU_DEP_1) | instskip(NEXT) | instid1(TRANS32_DEP_1)
	v_rcp_iflag_f32_e32 v3, v3
	v_mul_f32_e32 v3, 0x4f7ffffe, v3
	s_delay_alu instid0(VALU_DEP_1) | instskip(SKIP_1) | instid1(VALU_DEP_1)
	v_cvt_u32_f32_e32 v3, v3
	s_wait_alu 0xfffe
	v_mul_lo_u32 v4, s30, v3
	s_delay_alu instid0(VALU_DEP_1) | instskip(NEXT) | instid1(VALU_DEP_1)
	v_mul_hi_u32 v4, v3, v4
	v_add_nc_u32_e32 v3, v3, v4
	s_delay_alu instid0(VALU_DEP_1) | instskip(NEXT) | instid1(VALU_DEP_1)
	v_mul_hi_u32 v3, v9, v3
	v_mul_lo_u32 v4, v3, s28
	v_add_nc_u32_e32 v8, 1, v3
	s_delay_alu instid0(VALU_DEP_2) | instskip(NEXT) | instid1(VALU_DEP_1)
	v_sub_nc_u32_e32 v4, v9, v4
	v_subrev_nc_u32_e32 v12, s28, v4
	v_cmp_le_u32_e32 vcc_lo, s28, v4
	s_wait_alu 0xfffd
	s_delay_alu instid0(VALU_DEP_2) | instskip(SKIP_1) | instid1(VALU_DEP_2)
	v_cndmask_b32_e32 v4, v4, v12, vcc_lo
	v_cndmask_b32_e32 v3, v3, v8, vcc_lo
	v_cmp_le_u32_e32 vcc_lo, s28, v4
	s_delay_alu instid0(VALU_DEP_2) | instskip(SKIP_2) | instid1(VALU_DEP_2)
	v_add_nc_u32_e32 v8, 1, v3
	v_mov_b32_e32 v4, v7
	s_wait_alu 0xfffd
	v_cndmask_b32_e32 v3, v3, v8, vcc_lo
.LBB0_6:                                ;   in Loop: Header=BB0_2 Depth=1
	s_wait_alu 0xfffe
	s_or_b32 exec_lo, exec_lo, s2
	v_mul_lo_u32 v8, v4, s28
	s_delay_alu instid0(VALU_DEP_2)
	v_mul_lo_u32 v14, v3, s29
	s_load_b64 s[30:31], s[22:23], 0x0
	v_mad_co_u64_u32 v[12:13], null, v3, s28, 0
	s_load_b64 s[28:29], s[20:21], 0x0
	s_add_nc_u64 s[24:25], s[24:25], 1
	s_add_nc_u64 s[20:21], s[20:21], 8
	s_wait_alu 0xfffe
	v_cmp_ge_u64_e64 s2, s[24:25], s[10:11]
	s_add_nc_u64 s[22:23], s[22:23], 8
	s_add_nc_u64 s[26:27], s[26:27], 8
	v_add3_u32 v8, v13, v14, v8
	v_sub_co_u32 v9, vcc_lo, v9, v12
	s_wait_alu 0xfffd
	s_delay_alu instid0(VALU_DEP_2) | instskip(SKIP_2) | instid1(VALU_DEP_1)
	v_sub_co_ci_u32_e32 v8, vcc_lo, v10, v8, vcc_lo
	s_and_b32 vcc_lo, exec_lo, s2
	s_wait_kmcnt 0x0
	v_mul_lo_u32 v10, s30, v8
	v_mul_lo_u32 v12, s31, v9
	v_mad_co_u64_u32 v[5:6], null, s30, v9, v[5:6]
	v_mul_lo_u32 v8, s28, v8
	v_mul_lo_u32 v13, s29, v9
	v_mad_co_u64_u32 v[1:2], null, s28, v9, v[1:2]
	s_delay_alu instid0(VALU_DEP_4) | instskip(NEXT) | instid1(VALU_DEP_2)
	v_add3_u32 v6, v12, v6, v10
	v_add3_u32 v2, v13, v2, v8
	s_wait_alu 0xfffe
	s_cbranch_vccnz .LBB0_9
; %bb.7:                                ;   in Loop: Header=BB0_2 Depth=1
	v_dual_mov_b32 v10, v4 :: v_dual_mov_b32 v9, v3
	s_branch .LBB0_2
.LBB0_8:
	v_dual_mov_b32 v1, v5 :: v_dual_mov_b32 v2, v6
	s_delay_alu instid0(VALU_DEP_2)
	v_dual_mov_b32 v3, v9 :: v_dual_mov_b32 v4, v10
.LBB0_9:
	s_load_b64 s[0:1], s[0:1], 0x28
	v_mul_hi_u32 v8, 0x295fad5, v0
	s_lshl_b64 s[10:11], s[10:11], 3
                                        ; implicit-def: $sgpr2_sgpr3
                                        ; implicit-def: $vgpr32
	s_wait_kmcnt 0x0
	v_cmp_gt_u64_e32 vcc_lo, s[0:1], v[3:4]
	v_cmp_le_u64_e64 s0, s[0:1], v[3:4]
	s_delay_alu instid0(VALU_DEP_1)
	s_and_saveexec_b32 s1, s0
	s_wait_alu 0xfffe
	s_xor_b32 s0, exec_lo, s1
; %bb.10:
	v_mul_u32_u24_e32 v5, 0x63, v8
	s_mov_b64 s[2:3], 0
                                        ; implicit-def: $vgpr8
	s_delay_alu instid0(VALU_DEP_1)
	v_sub_nc_u32_e32 v32, v0, v5
                                        ; implicit-def: $vgpr0
                                        ; implicit-def: $vgpr5_vgpr6
; %bb.11:
	s_wait_alu 0xfffe
	s_or_saveexec_b32 s1, s0
	v_dual_mov_b32 v23, s3 :: v_dual_mov_b32 v22, s2
	v_dual_mov_b32 v27, s3 :: v_dual_mov_b32 v26, s2
	;; [unrolled: 1-line block ×4, first 2 shown]
	s_add_nc_u64 s[2:3], s[14:15], s[10:11]
                                        ; implicit-def: $vgpr7
                                        ; implicit-def: $vgpr19
                                        ; implicit-def: $vgpr31
                                        ; implicit-def: $vgpr29
                                        ; implicit-def: $vgpr25
	s_wait_alu 0xfffe
	s_xor_b32 exec_lo, exec_lo, s1
	s_cbranch_execz .LBB0_13
; %bb.12:
	s_add_nc_u64 s[10:11], s[12:13], s[10:11]
	v_mul_u32_u24_e32 v7, 0x63, v8
	s_load_b64 s[10:11], s[10:11], 0x0
	v_lshlrev_b64_e32 v[5:6], 3, v[5:6]
	s_delay_alu instid0(VALU_DEP_2) | instskip(NEXT) | instid1(VALU_DEP_1)
	v_sub_nc_u32_e32 v32, v0, v7
	v_add_nc_u32_e32 v22, 0x129, v32
	v_mad_co_u64_u32 v[7:8], null, s18, v32, 0
	v_add_nc_u32_e32 v21, 0xc6, v32
	v_add_nc_u32_e32 v34, 0x318, v32
	s_delay_alu instid0(VALU_DEP_4) | instskip(SKIP_3) | instid1(VALU_DEP_3)
	v_mad_co_u64_u32 v[14:15], null, s18, v22, 0
	v_add_nc_u32_e32 v20, 0x63, v32
	v_dual_mov_b32 v0, v8 :: v_dual_add_nc_u32 v33, 0x2b5, v32
	v_mad_co_u64_u32 v[12:13], null, s18, v21, 0
	v_mad_co_u64_u32 v[9:10], null, s18, v20, 0
	s_wait_kmcnt 0x0
	v_mul_lo_u32 v8, s11, v3
	v_mul_lo_u32 v23, s10, v4
	v_mad_co_u64_u32 v[16:17], null, s10, v3, 0
	v_mad_co_u64_u32 v[18:19], null, s19, v32, v[0:1]
	v_mov_b32_e32 v0, v10
	v_dual_mov_b32 v10, v13 :: v_dual_mov_b32 v13, v15
	v_mad_co_u64_u32 v[28:29], null, s18, v34, 0
	v_add3_u32 v17, v17, v23, v8
	v_add_nc_u32_e32 v23, 0x252, v32
	v_mad_co_u64_u32 v[19:20], null, s19, v20, v[0:1]
	v_mov_b32_e32 v8, v18
	s_delay_alu instid0(VALU_DEP_4) | instskip(SKIP_3) | instid1(VALU_DEP_4)
	v_lshlrev_b64_e32 v[15:16], 3, v[16:17]
	v_mad_co_u64_u32 v[20:21], null, s19, v21, v[10:11]
	v_mad_co_u64_u32 v[17:18], null, s19, v22, v[13:14]
	v_mov_b32_e32 v10, v19
	v_add_co_u32 v0, s0, s4, v15
	s_wait_alu 0xf1ff
	v_add_co_ci_u32_e64 v15, s0, s5, v16, s0
	v_lshlrev_b64_e32 v[7:8], 3, v[7:8]
	v_add_nc_u32_e32 v24, 0x18c, v32
	v_add_co_u32 v30, s0, v0, v5
	s_wait_alu 0xf1ff
	v_add_co_ci_u32_e64 v31, s0, v15, v6, s0
	v_mov_b32_e32 v15, v17
	v_lshlrev_b64_e32 v[5:6], 3, v[9:10]
	v_mov_b32_e32 v13, v20
	v_add_co_u32 v7, s0, v30, v7
	v_mad_co_u64_u32 v[9:10], null, s18, v24, 0
	s_wait_alu 0xf1ff
	v_add_co_ci_u32_e64 v8, s0, v31, v8, s0
	v_add_co_u32 v18, s0, v30, v5
	s_wait_alu 0xf1ff
	v_add_co_ci_u32_e64 v19, s0, v31, v6, s0
	v_lshlrev_b64_e32 v[5:6], 3, v[12:13]
	v_add_nc_u32_e32 v22, 0x1ef, v32
	v_mov_b32_e32 v0, v10
	v_mad_co_u64_u32 v[20:21], null, s18, v23, 0
	s_delay_alu instid0(VALU_DEP_3)
	v_mad_co_u64_u32 v[12:13], null, s18, v22, 0
	v_add_co_u32 v16, s0, v30, v5
	s_wait_alu 0xf1ff
	v_add_co_ci_u32_e64 v17, s0, v31, v6, s0
	v_lshlrev_b64_e32 v[5:6], 3, v[14:15]
	v_mad_co_u64_u32 v[14:15], null, s19, v24, v[0:1]
	v_mov_b32_e32 v0, v13
	s_delay_alu instid0(VALU_DEP_3) | instskip(SKIP_1) | instid1(VALU_DEP_4)
	v_add_co_u32 v24, s0, v30, v5
	s_wait_alu 0xf1ff
	v_add_co_ci_u32_e64 v25, s0, v31, v6, s0
	s_delay_alu instid0(VALU_DEP_4) | instskip(SKIP_3) | instid1(VALU_DEP_1)
	v_mov_b32_e32 v10, v14
	v_mad_co_u64_u32 v[14:15], null, s18, v33, 0
	v_mad_co_u64_u32 v[5:6], null, s19, v22, v[0:1]
	v_mov_b32_e32 v0, v21
	v_mad_co_u64_u32 v[21:22], null, s19, v23, v[0:1]
	s_delay_alu instid0(VALU_DEP_4)
	v_mov_b32_e32 v0, v15
	s_clause 0x3
	global_load_b64 v[6:7], v[7:8], off
	global_load_b64 v[22:23], v[18:19], off
	;; [unrolled: 1-line block ×4, first 2 shown]
	v_mov_b32_e32 v13, v5
	v_lshlrev_b64_e32 v[8:9], 3, v[9:10]
	v_mad_co_u64_u32 v[18:19], null, s19, v33, v[0:1]
	v_mov_b32_e32 v0, v29
	s_delay_alu instid0(VALU_DEP_4) | instskip(NEXT) | instid1(VALU_DEP_4)
	v_lshlrev_b64_e32 v[12:13], 3, v[12:13]
	v_add_co_u32 v8, s0, v30, v8
	v_lshlrev_b64_e32 v[19:20], 3, v[20:21]
	s_delay_alu instid0(VALU_DEP_4) | instskip(SKIP_4) | instid1(VALU_DEP_3)
	v_mad_co_u64_u32 v[24:25], null, s19, v34, v[0:1]
	v_mov_b32_e32 v15, v18
	s_wait_alu 0xf1ff
	v_add_co_ci_u32_e64 v9, s0, v31, v9, s0
	v_add_co_u32 v12, s0, v30, v12
	v_lshlrev_b64_e32 v[14:15], 3, v[14:15]
	v_mov_b32_e32 v29, v24
	s_wait_alu 0xf1ff
	v_add_co_ci_u32_e64 v13, s0, v31, v13, s0
	v_add_co_u32 v24, s0, v30, v19
	s_delay_alu instid0(VALU_DEP_3)
	v_lshlrev_b64_e32 v[18:19], 3, v[28:29]
	s_wait_alu 0xf1ff
	v_add_co_ci_u32_e64 v25, s0, v31, v20, s0
	v_add_co_u32 v14, s0, v30, v14
	s_wait_alu 0xf1ff
	v_add_co_ci_u32_e64 v15, s0, v31, v15, s0
	v_add_co_u32 v30, s0, v30, v18
	s_wait_alu 0xf1ff
	v_add_co_ci_u32_e64 v31, s0, v31, v19, s0
	s_clause 0x4
	global_load_b64 v[20:21], v[8:9], off
	global_load_b64 v[18:19], v[12:13], off
	;; [unrolled: 1-line block ×5, first 2 shown]
.LBB0_13:
	s_or_b32 exec_lo, exec_lo, s1
	s_wait_loadcnt 0x1
	v_dual_sub_f32 v0, v27, v29 :: v_dual_add_f32 v9, v28, v26
	s_wait_loadcnt 0x0
	v_dual_add_f32 v8, v30, v22 :: v_dual_and_b32 v5, 1, v11
	v_dual_sub_f32 v10, v23, v31 :: v_dual_add_f32 v11, v24, v16
	s_delay_alu instid0(VALU_DEP_3) | instskip(NEXT) | instid1(VALU_DEP_3)
	v_dual_mul_f32 v14, 0x3f7c1c5c, v0 :: v_dual_sub_f32 v13, v17, v25
	v_dual_add_f32 v12, v8, v9 :: v_dual_sub_f32 v15, v21, v19
	s_delay_alu instid0(VALU_DEP_4) | instskip(SKIP_1) | instid1(VALU_DEP_2)
	v_cmp_eq_u32_e64 s0, 1, v5
	s_load_b64 s[2:3], s[2:3], 0x0
	v_dual_add_f32 v35, v18, v20 :: v_dual_add_f32 v34, v12, v11
	v_fmac_f32_e32 v14, 0x3f248dbb, v10
	v_mul_f32_e32 v39, 0x3f7c1c5c, v15
	v_mul_f32_e32 v38, 0xbf248dbb, v15
	v_cndmask_b32_e64 v36, 0, 0x37b, s0
	v_add_f32_e32 v5, v34, v20
	v_fmamk_f32 v33, v8, 0x3f441b7d, v6
	v_fmac_f32_e32 v14, 0x3f5db3d7, v13
	v_fma_f32 v39, 0xbf248dbb, v0, -v39
	v_cmp_gt_u32_e64 s0, 0x51, v32
	v_add_f32_e32 v34, v18, v5
	v_fmac_f32_e32 v33, 0x3e31d0d4, v9
	v_fmamk_f32 v37, v35, 0x3f441b7d, v6
	v_add_f32_e32 v5, v6, v11
	s_delay_alu instid0(VALU_DEP_4) | instskip(NEXT) | instid1(VALU_DEP_4)
	v_add_f32_e32 v34, v6, v34
	v_dual_fmac_f32 v6, 0x3f441b7d, v9 :: v_dual_fmac_f32 v33, -0.5, v11
	s_delay_alu instid0(VALU_DEP_1) | instskip(SKIP_1) | instid1(VALU_DEP_2)
	v_dual_fmac_f32 v37, 0x3e31d0d4, v8 :: v_dual_fmac_f32 v6, 0x3e31d0d4, v35
	v_fmac_f32_e32 v39, 0x3f5db3d7, v13
	v_fmac_f32_e32 v37, -0.5, v11
	s_delay_alu instid0(VALU_DEP_3) | instskip(NEXT) | instid1(VALU_DEP_3)
	v_fmac_f32_e32 v6, -0.5, v11
	v_dual_fmac_f32 v14, 0x3eaf1d44, v15 :: v_dual_fmac_f32 v39, 0x3eaf1d44, v10
	v_fmac_f32_e32 v33, 0xbf708fb2, v35
	s_delay_alu instid0(VALU_DEP_3) | instskip(SKIP_1) | instid1(VALU_DEP_3)
	v_dual_add_f32 v11, v12, v35 :: v_dual_fmac_f32 v6, 0xbf708fb2, v8
	v_mad_u32_u24 v35, v32, 36, 0
	v_dual_add_f32 v15, v10, v15 :: v_dual_sub_f32 v8, v33, v14
	v_dual_fmac_f32 v38, 0x3f7c1c5c, v10 :: v_dual_lshlrev_b32 v33, 2, v32
	s_delay_alu instid0(VALU_DEP_4) | instskip(NEXT) | instid1(VALU_DEP_2)
	v_dual_fmac_f32 v37, 0xbf708fb2, v9 :: v_dual_sub_f32 v6, v6, v39
	v_dual_fmac_f32 v5, -0.5, v11 :: v_dual_fmac_f32 v38, 0xbf5db3d7, v13
	s_delay_alu instid0(VALU_DEP_2) | instskip(NEXT) | instid1(VALU_DEP_2)
	v_fma_f32 v12, 2.0, v39, v6
	v_fmac_f32_e32 v38, 0x3eaf1d44, v0
	v_sub_f32_e32 v0, v15, v0
                                        ; implicit-def: $vgpr15
	s_delay_alu instid0(VALU_DEP_2) | instskip(NEXT) | instid1(VALU_DEP_2)
	v_sub_f32_e32 v9, v37, v38
	v_mul_f32_e32 v11, 0x3f5db3d7, v0
	v_fmac_f32_e32 v5, 0xbf5db3d7, v0
	v_lshl_add_u32 v37, v36, 2, v35
	v_lshlrev_b32_e32 v0, 2, v36
	v_fma_f32 v10, 2.0, v38, v9
	v_lshlrev_b32_e32 v36, 5, v32
	v_fma_f32 v13, 2.0, v11, v5
	v_fma_f32 v11, 2.0, v14, v8
	ds_store_2addr_b32 v37, v34, v8 offset1:1
	ds_store_2addr_b32 v37, v9, v5 offset0:2 offset1:3
	ds_store_2addr_b32 v37, v6, v12 offset0:4 offset1:5
	;; [unrolled: 1-line block ×3, first 2 shown]
	ds_store_b32 v37, v11 offset:32
	global_wb scope:SCOPE_SE
	s_wait_dscnt 0x0
	s_wait_kmcnt 0x0
	s_barrier_signal -1
	s_barrier_wait -1
	global_inv scope:SCOPE_SE
	s_and_saveexec_b32 s1, s0
	s_cbranch_execz .LBB0_15
; %bb.14:
	v_sub_nc_u32_e32 v5, v35, v36
	v_add3_u32 v6, 0, v0, v33
	s_delay_alu instid0(VALU_DEP_2)
	v_add_nc_u32_e32 v5, v5, v0
	ds_load_b32 v34, v6
	v_add_nc_u32_e32 v6, 0x200, v5
	v_add_nc_u32_e32 v10, 0x400, v5
	;; [unrolled: 1-line block ×4, first 2 shown]
	ds_load_2addr_b32 v[8:9], v5 offset0:81 offset1:162
	ds_load_2addr_b32 v[5:6], v6 offset0:115 offset1:196
	;; [unrolled: 1-line block ×5, first 2 shown]
.LBB0_15:
	s_wait_alu 0xfffe
	s_or_b32 exec_lo, exec_lo, s1
	v_dual_add_f32 v23, v31, v23 :: v_dual_sub_f32 v22, v22, v30
	v_dual_add_f32 v29, v29, v27 :: v_dual_sub_f32 v24, v16, v24
	;; [unrolled: 1-line block ×3, first 2 shown]
	s_delay_alu instid0(VALU_DEP_2)
	v_dual_sub_f32 v25, v26, v28 :: v_dual_add_f32 v26, v23, v29
	v_add_f32_e32 v20, v19, v21
	global_wb scope:SCOPE_SE
	s_wait_dscnt 0x0
	v_mul_f32_e32 v31, 0xbf248dbb, v18
	v_mul_f32_e32 v28, 0x3f7c1c5c, v25
	v_add_f32_e32 v16, v26, v17
	v_fmamk_f32 v30, v23, 0x3f441b7d, v7
	s_barrier_signal -1
	v_fmac_f32_e32 v31, 0x3f7c1c5c, v22
	s_barrier_wait -1
	v_add_f32_e32 v21, v16, v21
	v_fmamk_f32 v38, v20, 0x3f441b7d, v7
	s_delay_alu instid0(VALU_DEP_3)
	v_dual_add_f32 v16, v7, v17 :: v_dual_fmac_f32 v31, 0xbf5db3d7, v24
	global_inv scope:SCOPE_SE
	v_dual_add_f32 v19, v19, v21 :: v_dual_fmac_f32 v28, 0x3f248dbb, v22
	v_mul_f32_e32 v21, 0x3f7c1c5c, v18
	v_fmac_f32_e32 v38, 0x3e31d0d4, v23
	v_fmac_f32_e32 v31, 0x3eaf1d44, v25
	s_delay_alu instid0(VALU_DEP_4) | instskip(SKIP_4) | instid1(VALU_DEP_4)
	v_add_f32_e32 v27, v7, v19
	v_fmac_f32_e32 v7, 0x3f441b7d, v29
	v_fmac_f32_e32 v30, 0x3e31d0d4, v29
	v_fma_f32 v39, 0xbf248dbb, v25, -v21
	v_dual_add_f32 v19, v26, v20 :: v_dual_fmac_f32 v38, -0.5, v17
	v_fmac_f32_e32 v7, 0x3e31d0d4, v20
	v_fmac_f32_e32 v28, 0x3f5db3d7, v24
	s_delay_alu instid0(VALU_DEP_4) | instskip(NEXT) | instid1(VALU_DEP_3)
	v_dual_fmac_f32 v30, -0.5, v17 :: v_dual_fmac_f32 v39, 0x3f5db3d7, v24
	v_dual_fmac_f32 v16, -0.5, v19 :: v_dual_fmac_f32 v7, -0.5, v17
	s_delay_alu instid0(VALU_DEP_3) | instskip(SKIP_1) | instid1(VALU_DEP_4)
	v_fmac_f32_e32 v28, 0x3eaf1d44, v18
	v_add_f32_e32 v18, v22, v18
	v_fmac_f32_e32 v30, 0xbf708fb2, v20
	s_delay_alu instid0(VALU_DEP_4) | instskip(SKIP_1) | instid1(VALU_DEP_3)
	v_dual_fmac_f32 v38, 0xbf708fb2, v29 :: v_dual_fmac_f32 v7, 0xbf708fb2, v23
	v_fmac_f32_e32 v39, 0x3eaf1d44, v22
	v_dual_sub_f32 v17, v18, v25 :: v_dual_add_f32 v22, v28, v30
	s_delay_alu instid0(VALU_DEP_3) | instskip(NEXT) | instid1(VALU_DEP_2)
	v_add_f32_e32 v23, v31, v38
                                        ; implicit-def: $vgpr25
	v_mul_f32_e32 v18, 0x3f5db3d7, v17
	s_delay_alu instid0(VALU_DEP_4) | instskip(NEXT) | instid1(VALU_DEP_4)
	v_dual_fmac_f32 v16, 0x3f5db3d7, v17 :: v_dual_add_f32 v17, v39, v7
	v_fma_f32 v19, -2.0, v28, v22
	s_delay_alu instid0(VALU_DEP_2) | instskip(SKIP_1) | instid1(VALU_DEP_4)
	v_fma_f32 v21, -2.0, v18, v16
	v_fma_f32 v18, -2.0, v31, v23
	;; [unrolled: 1-line block ×3, first 2 shown]
	ds_store_2addr_b32 v37, v27, v22 offset1:1
	ds_store_2addr_b32 v37, v23, v16 offset0:2 offset1:3
	ds_store_2addr_b32 v37, v17, v20 offset0:4 offset1:5
	;; [unrolled: 1-line block ×3, first 2 shown]
	ds_store_b32 v37, v19 offset:32
	global_wb scope:SCOPE_SE
	s_wait_dscnt 0x0
	s_barrier_signal -1
	s_barrier_wait -1
	global_inv scope:SCOPE_SE
	s_and_saveexec_b32 s1, s0
	s_cbranch_execz .LBB0_17
; %bb.16:
	v_sub_nc_u32_e32 v7, v35, v36
	v_add3_u32 v16, 0, v0, v33
	s_delay_alu instid0(VALU_DEP_2)
	v_add_nc_u32_e32 v7, v7, v0
	ds_load_b32 v27, v16
	v_add_nc_u32_e32 v16, 0x200, v7
	v_add_nc_u32_e32 v18, 0x400, v7
	;; [unrolled: 1-line block ×4, first 2 shown]
	ds_load_2addr_b32 v[22:23], v7 offset0:81 offset1:162
	ds_load_2addr_b32 v[16:17], v16 offset0:115 offset1:196
	;; [unrolled: 1-line block ×5, first 2 shown]
.LBB0_17:
	s_wait_alu 0xfffe
	s_or_b32 exec_lo, exec_lo, s1
	v_and_b32_e32 v7, 0xff, v32
	s_delay_alu instid0(VALU_DEP_1) | instskip(NEXT) | instid1(VALU_DEP_1)
	v_mul_lo_u16 v7, v7, 57
	v_lshrrev_b16 v7, 9, v7
	s_delay_alu instid0(VALU_DEP_1) | instskip(NEXT) | instid1(VALU_DEP_1)
	v_mul_lo_u16 v26, v7, 9
	v_sub_nc_u16 v26, v32, v26
	s_delay_alu instid0(VALU_DEP_1) | instskip(NEXT) | instid1(VALU_DEP_1)
	v_and_b32_e32 v66, 0xff, v26
	v_mul_u32_u24_e32 v26, 10, v66
	s_delay_alu instid0(VALU_DEP_1)
	v_lshlrev_b32_e32 v26, 3, v26
	s_clause 0x4
	global_load_b128 v[46:49], v26, s[8:9]
	global_load_b128 v[50:53], v26, s[8:9] offset:16
	global_load_b128 v[54:57], v26, s[8:9] offset:32
	;; [unrolled: 1-line block ×4, first 2 shown]
	v_and_b32_e32 v26, 0xffff, v7
	global_wb scope:SCOPE_SE
	s_wait_loadcnt_dscnt 0x0
	s_barrier_signal -1
	s_barrier_wait -1
	global_inv scope:SCOPE_SE
	v_dual_mul_f32 v35, v9, v49 :: v_dual_mul_f32 v44, v22, v47
	v_mul_f32_e32 v7, v8, v47
	v_dual_mul_f32 v41, v23, v49 :: v_dual_mul_f32 v36, v16, v51
	v_dual_mul_f32 v39, v6, v53 :: v_dual_mul_f32 v38, v5, v51
	v_mul_f32_e32 v37, v19, v61
	v_dual_mul_f32 v30, v17, v53 :: v_dual_mul_f32 v31, v18, v59
	v_dual_mul_f32 v28, v20, v55 :: v_dual_mul_f32 v29, v21, v57
	;; [unrolled: 1-line block ×3, first 2 shown]
	v_dual_mul_f32 v49, v10, v59 :: v_dual_fmac_f32 v44, v8, v46
	v_dual_mul_f32 v51, v11, v61 :: v_dual_mul_f32 v42, v24, v63
	v_dual_mul_f32 v53, v14, v63 :: v_dual_fmac_f32 v36, v5, v50
	v_dual_mul_f32 v45, v25, v65 :: v_dual_fmac_f32 v30, v6, v52
	v_dual_mul_f32 v55, v15, v65 :: v_dual_fmac_f32 v28, v12, v54
	v_fma_f32 v46, v22, v46, -v7
	v_dual_fmac_f32 v41, v9, v48 :: v_dual_fmac_f32 v42, v14, v62
	v_fma_f32 v43, v23, v48, -v35
	v_fma_f32 v38, v16, v50, -v38
	v_fma_f32 v23, v17, v52, -v39
	v_fma_f32 v16, v20, v54, -v40
	v_fmac_f32_e32 v29, v13, v56
	v_fma_f32 v20, v21, v56, -v47
	v_fmac_f32_e32 v31, v10, v58
	v_fma_f32 v35, v18, v58, -v49
	;; [unrolled: 2-line block ×3, first 2 shown]
	v_fma_f32 v40, v24, v62, -v53
	v_fmac_f32_e32 v45, v15, v64
	v_fma_f32 v14, v25, v64, -v55
	v_lshlrev_b32_e32 v13, 2, v66
	s_and_saveexec_b32 s1, s0
	s_cbranch_execz .LBB0_19
; %bb.18:
	s_delay_alu instid0(VALU_DEP_2) | instskip(SKIP_2) | instid1(VALU_DEP_3)
	v_dual_sub_f32 v5, v46, v14 :: v_dual_add_f32 v6, v44, v45
	v_dual_add_f32 v7, v41, v42 :: v_dual_sub_f32 v8, v43, v40
	v_dual_add_f32 v9, v36, v37 :: v_dual_add_f32 v12, v30, v31
	v_dual_mul_f32 v10, 0xbe903f40, v5 :: v_dual_sub_f32 v11, v38, v39
	v_add_f32_e32 v19, v28, v29
	v_dual_sub_f32 v21, v16, v20 :: v_dual_mul_f32 v48, 0xbf4178ce, v5
	s_delay_alu instid0(VALU_DEP_3) | instskip(SKIP_2) | instid1(VALU_DEP_4)
	v_fma_f32 v18, 0xbf75a155, v6, -v10
	v_sub_f32_e32 v15, v23, v35
	v_mul_f32_e32 v22, 0xbf4178ce, v11
	v_mul_f32_e32 v52, 0xbf4178ce, v21
	v_fma_f32 v51, 0xbf27a4f4, v6, -v48
	v_dual_add_f32 v18, v34, v18 :: v_dual_mul_f32 v17, 0x3f0a6770, v8
	s_delay_alu instid0(VALU_DEP_4) | instskip(NEXT) | instid1(VALU_DEP_3)
	v_fma_f32 v49, 0xbf27a4f4, v9, -v22
	v_dual_fmac_f32 v10, 0xbf75a155, v6 :: v_dual_add_f32 v51, v34, v51
	v_mul_f32_e32 v47, 0xbf7d64f0, v21
	s_delay_alu instid0(VALU_DEP_4) | instskip(NEXT) | instid1(VALU_DEP_3)
	v_fma_f32 v24, 0x3f575c64, v7, -v17
	v_dual_mul_f32 v55, 0x3f0a6770, v21 :: v_dual_add_f32 v10, v34, v10
	s_delay_alu instid0(VALU_DEP_2) | instskip(SKIP_1) | instid1(VALU_DEP_2)
	v_dual_add_f32 v18, v24, v18 :: v_dual_mul_f32 v25, 0x3f68dda4, v15
	v_mul_f32_e32 v24, 0x3f7d64f0, v8
	v_add_f32_e32 v18, v49, v18
	s_delay_alu instid0(VALU_DEP_3) | instskip(SKIP_3) | instid1(VALU_DEP_4)
	v_fma_f32 v50, 0x3ed4b147, v12, -v25
	v_fmac_f32_e32 v17, 0x3f575c64, v7
	v_fma_f32 v49, 0xbe11bafb, v19, -v47
	v_fmac_f32_e32 v25, 0x3ed4b147, v12
	v_dual_fmac_f32 v47, 0xbe11bafb, v19 :: v_dual_add_f32 v18, v50, v18
	s_delay_alu instid0(VALU_DEP_4) | instskip(SKIP_1) | instid1(VALU_DEP_3)
	v_dual_add_f32 v10, v17, v10 :: v_dual_mul_f32 v17, 0xbf0a6770, v11
	v_fma_f32 v50, 0xbe11bafb, v7, -v24
	v_add_f32_e32 v18, v49, v18
	s_delay_alu instid0(VALU_DEP_3) | instskip(SKIP_3) | instid1(VALU_DEP_1)
	v_fma_f32 v49, 0x3f575c64, v9, -v17
	v_fmac_f32_e32 v17, 0x3f575c64, v9
	v_fmac_f32_e32 v48, 0xbf27a4f4, v6
	;; [unrolled: 1-line block ×3, first 2 shown]
	v_add_f32_e32 v10, v22, v10
	v_add_f32_e32 v22, v50, v51
	s_delay_alu instid0(VALU_DEP_1) | instskip(NEXT) | instid1(VALU_DEP_3)
	v_dual_add_f32 v22, v49, v22 :: v_dual_mul_f32 v49, 0x3f68dda4, v21
	v_dual_add_f32 v10, v25, v10 :: v_dual_add_f32 v25, v34, v48
	s_delay_alu instid0(VALU_DEP_1) | instskip(SKIP_1) | instid1(VALU_DEP_1)
	v_dual_add_f32 v10, v47, v10 :: v_dual_mul_f32 v47, 0xbf7d64f0, v5
	v_fmac_f32_e32 v24, 0xbe11bafb, v7
	v_add_f32_e32 v24, v24, v25
	v_fma_f32 v25, 0x3ed4b147, v19, -v49
	v_fmac_f32_e32 v49, 0x3ed4b147, v19
	v_mul_f32_e32 v50, 0xbe903f40, v15
	s_delay_alu instid0(VALU_DEP_1) | instskip(NEXT) | instid1(VALU_DEP_1)
	v_fma_f32 v48, 0xbf75a155, v12, -v50
	v_add_f32_e32 v22, v48, v22
	s_delay_alu instid0(VALU_DEP_1) | instskip(SKIP_2) | instid1(VALU_DEP_2)
	v_add_f32_e32 v22, v25, v22
	v_fma_f32 v25, 0xbe11bafb, v6, -v47
	v_fmac_f32_e32 v47, 0xbe11bafb, v6
	v_add_f32_e32 v25, v34, v25
	s_delay_alu instid0(VALU_DEP_2) | instskip(SKIP_2) | instid1(VALU_DEP_1)
	v_add_f32_e32 v47, v34, v47
	v_add_f32_e32 v17, v17, v24
	v_mul_f32_e32 v24, 0x3e903f40, v8
	v_fma_f32 v48, 0xbf75a155, v7, -v24
	s_delay_alu instid0(VALU_DEP_1) | instskip(NEXT) | instid1(VALU_DEP_1)
	v_dual_fmac_f32 v50, 0xbf75a155, v12 :: v_dual_add_f32 v25, v48, v25
	v_dual_add_f32 v17, v50, v17 :: v_dual_mul_f32 v50, 0x3f68dda4, v11
	v_mul_f32_e32 v48, 0xbf68dda4, v5
	v_mul_f32_e32 v5, 0xbf0a6770, v5
	s_delay_alu instid0(VALU_DEP_3) | instskip(NEXT) | instid1(VALU_DEP_4)
	v_add_f32_e32 v17, v49, v17
	v_fma_f32 v51, 0x3ed4b147, v9, -v50
	v_mul_f32_e32 v49, 0xbf0a6770, v15
	s_delay_alu instid0(VALU_DEP_2)
	v_dual_add_f32 v25, v51, v25 :: v_dual_fmac_f32 v24, 0xbf75a155, v7
	v_mul_f32_e32 v51, 0xbf4178ce, v8
	v_fma_f32 v53, 0xbf27a4f4, v19, -v52
	v_fmac_f32_e32 v52, 0xbf27a4f4, v19
	v_mul_f32_e32 v8, 0xbf68dda4, v8
	v_add_f32_e32 v24, v24, v47
	v_fma_f32 v47, 0x3f575c64, v12, -v49
	v_fmac_f32_e32 v49, 0x3f575c64, v12
	s_delay_alu instid0(VALU_DEP_2) | instskip(SKIP_1) | instid1(VALU_DEP_1)
	v_add_f32_e32 v25, v47, v25
	v_fmac_f32_e32 v50, 0x3ed4b147, v9
	v_add_f32_e32 v24, v50, v24
	v_fma_f32 v50, 0x3ed4b147, v6, -v48
	s_delay_alu instid0(VALU_DEP_1) | instskip(SKIP_2) | instid1(VALU_DEP_2)
	v_dual_add_f32 v24, v49, v24 :: v_dual_add_f32 v49, v34, v50
	v_fma_f32 v50, 0xbf27a4f4, v7, -v51
	v_fmac_f32_e32 v51, 0xbf27a4f4, v7
	v_dual_add_f32 v47, v50, v49 :: v_dual_add_f32 v24, v52, v24
	v_add_f32_e32 v52, v34, v44
	v_mul_f32_e32 v54, 0x3e903f40, v11
	v_mul_f32_e32 v50, 0x3f7d64f0, v15
	v_mul_f32_e32 v11, 0xbf7d64f0, v11
	v_mul_f32_e32 v15, 0xbf4178ce, v15
	s_delay_alu instid0(VALU_DEP_4) | instskip(NEXT) | instid1(VALU_DEP_1)
	v_fma_f32 v49, 0xbf75a155, v9, -v54
	v_add_f32_e32 v47, v49, v47
	v_fma_f32 v49, 0xbe11bafb, v12, -v50
	s_delay_alu instid0(VALU_DEP_1) | instskip(SKIP_1) | instid1(VALU_DEP_2)
	v_dual_add_f32 v47, v49, v47 :: v_dual_fmac_f32 v48, 0x3ed4b147, v6
	v_fma_f32 v49, 0x3f575c64, v19, -v55
	v_dual_fmac_f32 v55, 0x3f575c64, v19 :: v_dual_add_f32 v48, v34, v48
	s_delay_alu instid0(VALU_DEP_1) | instskip(SKIP_2) | instid1(VALU_DEP_3)
	v_dual_add_f32 v48, v51, v48 :: v_dual_add_f32 v51, v52, v41
	v_fma_f32 v52, 0x3f575c64, v6, -v5
	v_fmac_f32_e32 v5, 0x3f575c64, v6
	v_add_f32_e32 v51, v51, v36
	s_delay_alu instid0(VALU_DEP_1)
	v_dual_add_f32 v5, v34, v5 :: v_dual_add_f32 v6, v51, v30
	v_fma_f32 v51, 0x3ed4b147, v7, -v8
	v_dual_fmac_f32 v8, 0x3ed4b147, v7 :: v_dual_add_f32 v7, v34, v52
	v_fmac_f32_e32 v54, 0xbf75a155, v9
	v_fmac_f32_e32 v50, 0xbe11bafb, v12
	v_fma_f32 v34, 0xbe11bafb, v9, -v11
	v_fmac_f32_e32 v11, 0xbe11bafb, v9
	v_dual_add_f32 v5, v8, v5 :: v_dual_add_f32 v6, v6, v28
	v_mul_f32_e32 v9, 0xbe903f40, v21
	v_dual_add_f32 v7, v51, v7 :: v_dual_add_f32 v48, v54, v48
	v_fma_f32 v8, 0xbf27a4f4, v12, -v15
	s_delay_alu instid0(VALU_DEP_4) | instskip(SKIP_1) | instid1(VALU_DEP_4)
	v_dual_add_f32 v6, v6, v29 :: v_dual_fmac_f32 v15, 0xbf27a4f4, v12
	v_add_f32_e32 v5, v11, v5
	v_add_f32_e32 v7, v34, v7
	v_fma_f32 v12, 0xbf75a155, v19, -v9
	s_delay_alu instid0(VALU_DEP_4)
	v_add_f32_e32 v6, v6, v31
	v_fmac_f32_e32 v9, 0xbf75a155, v19
	v_add_f32_e32 v5, v15, v5
	v_mad_u32_u24 v15, 0x18c, v26, 0
	v_add_f32_e32 v11, v50, v48
	v_add_f32_e32 v6, v6, v37
	s_delay_alu instid0(VALU_DEP_4) | instskip(NEXT) | instid1(VALU_DEP_2)
	v_add_f32_e32 v5, v9, v5
	v_dual_add_f32 v9, v55, v11 :: v_dual_add_f32 v6, v6, v42
	v_add_f32_e32 v7, v8, v7
	v_add3_u32 v8, v15, v13, v0
	v_add_f32_e32 v11, v53, v25
	s_delay_alu instid0(VALU_DEP_4) | instskip(NEXT) | instid1(VALU_DEP_4)
	v_dual_add_f32 v15, v49, v47 :: v_dual_add_f32 v6, v6, v45
	v_add_f32_e32 v7, v12, v7
	ds_store_2addr_b32 v8, v6, v5 offset1:9
	ds_store_2addr_b32 v8, v9, v24 offset0:18 offset1:27
	ds_store_2addr_b32 v8, v17, v10 offset0:36 offset1:45
	;; [unrolled: 1-line block ×4, first 2 shown]
	ds_store_b32 v8, v7 offset:360
.LBB0_19:
	s_wait_alu 0xfffe
	s_or_b32 exec_lo, exec_lo, s1
	v_add3_u32 v17, 0, v33, v0
	v_add3_u32 v18, 0, v0, v33
	global_wb scope:SCOPE_SE
	s_wait_dscnt 0x0
	s_barrier_signal -1
	s_barrier_wait -1
	v_add_nc_u32_e32 v19, 0x400, v17
	v_add_nc_u32_e32 v21, 0x600, v17
	;; [unrolled: 1-line block ×3, first 2 shown]
	global_inv scope:SCOPE_SE
	ds_load_b32 v24, v18
	ds_load_2addr_b32 v[11:12], v19 offset0:41 offset1:140
	ds_load_2addr_b32 v[7:8], v21 offset0:111 offset1:210
	;; [unrolled: 1-line block ×4, first 2 shown]
	global_wb scope:SCOPE_SE
	s_wait_dscnt 0x0
	s_barrier_signal -1
	s_barrier_wait -1
	global_inv scope:SCOPE_SE
	s_and_saveexec_b32 s1, s0
	s_cbranch_execz .LBB0_21
; %bb.20:
	v_dual_add_f32 v25, v46, v14 :: v_dual_add_f32 v34, v43, v40
	v_add_f32_e32 v15, v27, v46
	v_sub_f32_e32 v33, v44, v45
	s_delay_alu instid0(VALU_DEP_3) | instskip(NEXT) | instid1(VALU_DEP_3)
	v_dual_sub_f32 v41, v41, v42 :: v_dual_mul_f32 v44, 0xbe11bafb, v25
	v_dual_mul_f32 v42, 0x3f575c64, v25 :: v_dual_add_f32 v15, v15, v43
	v_mul_f32_e32 v48, 0xbf75a155, v34
	v_mul_f32_e32 v46, 0x3ed4b147, v34
	v_mad_u32_u24 v26, 0x18c, v26, 0
	s_delay_alu instid0(VALU_DEP_4) | instskip(SKIP_2) | instid1(VALU_DEP_4)
	v_fmamk_f32 v49, v33, 0x3f0a6770, v42
	v_dual_add_f32 v15, v15, v38 :: v_dual_fmac_f32 v42, 0xbf0a6770, v33
	v_mul_f32_e32 v43, 0x3ed4b147, v25
	v_add3_u32 v13, v26, v13, v0
	v_add_f32_e32 v38, v38, v39
	v_sub_f32_e32 v36, v36, v37
	v_add_f32_e32 v42, v27, v42
	v_dual_add_f32 v15, v15, v23 :: v_dual_fmamk_f32 v50, v33, 0x3f68dda4, v43
	v_mul_f32_e32 v45, 0xbf27a4f4, v25
	v_add_f32_e32 v23, v23, v35
	v_mul_f32_e32 v37, 0xbe11bafb, v38
	s_delay_alu instid0(VALU_DEP_4) | instskip(SKIP_4) | instid1(VALU_DEP_3)
	v_add_f32_e32 v15, v15, v16
	v_add_f32_e32 v50, v27, v50
	v_fmamk_f32 v52, v33, 0x3f4178ce, v45
	v_dual_mul_f32 v47, 0xbf27a4f4, v34 :: v_dual_sub_f32 v30, v30, v31
	v_dual_mul_f32 v31, 0xbf27a4f4, v23 :: v_dual_add_f32 v16, v16, v20
	v_add_f32_e32 v52, v27, v52
	s_delay_alu instid0(VALU_DEP_3) | instskip(SKIP_4) | instid1(VALU_DEP_3)
	v_fmamk_f32 v54, v41, 0x3f4178ce, v47
	v_fmamk_f32 v51, v33, 0x3f7d64f0, v44
	v_dual_fmac_f32 v44, 0xbf7d64f0, v33 :: v_dual_add_f32 v15, v15, v20
	v_mul_f32_e32 v25, 0xbf75a155, v25
	v_dual_sub_f32 v28, v28, v29 :: v_dual_mul_f32 v29, 0xbf75a155, v16
	v_add_f32_e32 v44, v27, v44
	s_delay_alu instid0(VALU_DEP_4)
	v_add_f32_e32 v15, v15, v35
	v_fmac_f32_e32 v45, 0xbf4178ce, v33
	v_fmamk_f32 v53, v33, 0x3e903f40, v25
	v_fmac_f32_e32 v25, 0xbe903f40, v33
	v_mul_f32_e32 v35, 0xbf27a4f4, v38
	v_add_f32_e32 v15, v15, v39
	s_delay_alu instid0(VALU_DEP_3) | instskip(NEXT) | instid1(VALU_DEP_2)
	v_add_f32_e32 v25, v27, v25
	v_add_f32_e32 v15, v15, v40
	v_fmac_f32_e32 v43, 0xbf68dda4, v33
	v_dual_fmamk_f32 v33, v41, 0x3f68dda4, v46 :: v_dual_add_f32 v40, v27, v45
	v_add_f32_e32 v49, v27, v49
	s_delay_alu instid0(VALU_DEP_4) | instskip(NEXT) | instid1(VALU_DEP_4)
	v_add_f32_e32 v14, v15, v14
	v_dual_fmac_f32 v46, 0xbf68dda4, v41 :: v_dual_add_f32 v43, v27, v43
	s_delay_alu instid0(VALU_DEP_1) | instskip(SKIP_3) | instid1(VALU_DEP_3)
	v_add_f32_e32 v15, v46, v42
	v_dual_add_f32 v42, v54, v50 :: v_dual_fmac_f32 v47, 0xbf4178ce, v41
	v_mul_f32_e32 v46, 0xbe11bafb, v34
	v_dual_mul_f32 v34, 0x3f575c64, v34 :: v_dual_add_f32 v51, v27, v51
	v_add_f32_e32 v43, v47, v43
	s_delay_alu instid0(VALU_DEP_3)
	v_fmamk_f32 v39, v41, 0xbf7d64f0, v46
	v_fmac_f32_e32 v46, 0x3f7d64f0, v41
	v_add_f32_e32 v45, v27, v53
	v_fmamk_f32 v47, v41, 0xbf0a6770, v34
	v_fmac_f32_e32 v34, 0x3f0a6770, v41
	v_add_f32_e32 v27, v33, v49
	v_fmamk_f32 v33, v41, 0xbe903f40, v48
	v_fmac_f32_e32 v48, 0x3e903f40, v41
	v_dual_add_f32 v40, v46, v40 :: v_dual_add_f32 v41, v47, v45
	v_fmamk_f32 v45, v36, 0x3f7d64f0, v37
	v_dual_mul_f32 v46, 0xbf75a155, v38 :: v_dual_add_f32 v25, v34, v25
	v_fmac_f32_e32 v37, 0xbf7d64f0, v36
	v_mul_f32_e32 v34, 0x3ed4b147, v38
	s_delay_alu instid0(VALU_DEP_4) | instskip(NEXT) | instid1(VALU_DEP_4)
	v_dual_add_f32 v44, v48, v44 :: v_dual_add_f32 v27, v45, v27
	v_fmamk_f32 v45, v36, 0xbe903f40, v46
	s_delay_alu instid0(VALU_DEP_4) | instskip(NEXT) | instid1(VALU_DEP_4)
	v_dual_fmac_f32 v46, 0x3e903f40, v36 :: v_dual_add_f32 v15, v37, v15
	v_fmamk_f32 v37, v36, 0xbf68dda4, v34
	v_fmac_f32_e32 v34, 0x3f68dda4, v36
	s_delay_alu instid0(VALU_DEP_4)
	v_add_f32_e32 v42, v45, v42
	v_mul_f32_e32 v45, 0x3f575c64, v38
	v_add_f32_e32 v39, v39, v52
	v_add_f32_e32 v43, v46, v43
	v_dual_add_f32 v34, v34, v44 :: v_dual_add_f32 v33, v33, v51
	v_fmamk_f32 v38, v36, 0x3f4178ce, v35
	v_fmac_f32_e32 v35, 0xbf4178ce, v36
	s_delay_alu instid0(VALU_DEP_3) | instskip(SKIP_4) | instid1(VALU_DEP_4)
	v_add_f32_e32 v33, v37, v33
	v_fmamk_f32 v37, v36, 0x3f0a6770, v45
	v_fmac_f32_e32 v45, 0xbf0a6770, v36
	v_fmamk_f32 v36, v30, 0x3f4178ce, v31
	v_fmac_f32_e32 v31, 0xbf4178ce, v30
	v_add_f32_e32 v37, v37, v39
	s_delay_alu instid0(VALU_DEP_4) | instskip(NEXT) | instid1(VALU_DEP_4)
	v_dual_add_f32 v39, v45, v40 :: v_dual_mul_f32 v40, 0xbe11bafb, v23
	v_add_f32_e32 v27, v36, v27
	s_delay_alu instid0(VALU_DEP_4) | instskip(SKIP_1) | instid1(VALU_DEP_4)
	v_add_f32_e32 v15, v31, v15
	v_mul_f32_e32 v31, 0xbf75a155, v23
	v_fmamk_f32 v36, v30, 0xbf7d64f0, v40
	v_add_f32_e32 v38, v38, v41
	v_fmac_f32_e32 v40, 0x3f7d64f0, v30
	s_delay_alu instid0(VALU_DEP_3) | instskip(SKIP_4) | instid1(VALU_DEP_4)
	v_dual_add_f32 v36, v36, v42 :: v_dual_add_f32 v25, v35, v25
	v_mul_f32_e32 v35, 0x3f575c64, v23
	v_mul_f32_e32 v23, 0x3ed4b147, v23
	v_fmamk_f32 v42, v30, 0x3e903f40, v31
	v_dual_fmac_f32 v31, 0xbe903f40, v30 :: v_dual_add_f32 v40, v40, v43
	v_fmamk_f32 v41, v30, 0x3f0a6770, v35
	s_delay_alu instid0(VALU_DEP_3) | instskip(SKIP_1) | instid1(VALU_DEP_2)
	v_dual_fmac_f32 v35, 0xbf0a6770, v30 :: v_dual_add_f32 v20, v42, v37
	v_fmamk_f32 v37, v28, 0x3e903f40, v29
	v_dual_fmac_f32 v29, 0xbe903f40, v28 :: v_dual_add_f32 v34, v35, v34
	v_fmamk_f32 v35, v30, 0xbf68dda4, v23
	v_dual_fmac_f32 v23, 0x3f68dda4, v30 :: v_dual_add_f32 v30, v31, v39
	s_delay_alu instid0(VALU_DEP_3) | instskip(NEXT) | instid1(VALU_DEP_3)
	v_add_f32_e32 v15, v29, v15
	v_add_f32_e32 v31, v35, v38
	v_mul_f32_e32 v35, 0x3f575c64, v16
	s_delay_alu instid0(VALU_DEP_4) | instskip(SKIP_1) | instid1(VALU_DEP_3)
	v_add_f32_e32 v23, v23, v25
	v_mul_f32_e32 v25, 0xbf27a4f4, v16
	v_dual_fmamk_f32 v38, v28, 0xbf0a6770, v35 :: v_dual_add_f32 v33, v41, v33
	v_fmac_f32_e32 v35, 0x3f0a6770, v28
	s_delay_alu instid0(VALU_DEP_2) | instskip(SKIP_2) | instid1(VALU_DEP_1)
	v_add_f32_e32 v29, v38, v36
	v_mul_f32_e32 v36, 0x3ed4b147, v16
	v_mul_f32_e32 v16, 0xbe11bafb, v16
	v_dual_add_f32 v35, v35, v40 :: v_dual_fmamk_f32 v38, v28, 0x3f7d64f0, v16
	v_dual_fmac_f32 v16, 0xbf7d64f0, v28 :: v_dual_add_f32 v27, v37, v27
	v_fmamk_f32 v37, v28, 0x3f4178ce, v25
	s_delay_alu instid0(VALU_DEP_2) | instskip(NEXT) | instid1(VALU_DEP_2)
	v_dual_fmac_f32 v25, 0xbf4178ce, v28 :: v_dual_add_f32 v16, v16, v23
	v_add_f32_e32 v33, v37, v33
	v_fmamk_f32 v37, v28, 0xbf68dda4, v36
	v_fmac_f32_e32 v36, 0x3f68dda4, v28
	s_delay_alu instid0(VALU_DEP_4) | instskip(NEXT) | instid1(VALU_DEP_3)
	v_dual_add_f32 v28, v38, v31 :: v_dual_add_f32 v23, v25, v34
	v_add_f32_e32 v20, v37, v20
	s_delay_alu instid0(VALU_DEP_3)
	v_add_f32_e32 v26, v36, v30
	ds_store_2addr_b32 v13, v14, v27 offset1:9
	ds_store_2addr_b32 v13, v29, v33 offset0:18 offset1:27
	ds_store_2addr_b32 v13, v20, v28 offset0:36 offset1:45
	;; [unrolled: 1-line block ×4, first 2 shown]
	ds_store_b32 v13, v15 offset:360
.LBB0_21:
	s_wait_alu 0xfffe
	s_or_b32 exec_lo, exec_lo, s1
	v_dual_mov_b32 v16, 0 :: v_dual_lshlrev_b32 v15, 1, v32
	global_wb scope:SCOPE_SE
	s_wait_dscnt 0x0
	s_barrier_signal -1
	s_barrier_wait -1
	global_inv scope:SCOPE_SE
	v_lshlrev_b64_e32 v[13:14], 3, v[15:16]
	s_delay_alu instid0(VALU_DEP_1) | instskip(SKIP_1) | instid1(VALU_DEP_2)
	v_add_co_u32 v13, s0, s8, v13
	s_wait_alu 0xf1ff
	v_add_co_ci_u32_e64 v14, s0, s9, v14, s0
	global_load_b128 v[25:28], v[13:14], off offset:720
	v_add_nc_u32_e32 v15, 0xc6, v32
	s_delay_alu instid0(VALU_DEP_1) | instskip(NEXT) | instid1(VALU_DEP_1)
	v_and_b32_e32 v20, 0xffff, v15
	v_mul_u32_u24_e32 v20, 0xa57f, v20
	s_delay_alu instid0(VALU_DEP_1) | instskip(NEXT) | instid1(VALU_DEP_1)
	v_lshrrev_b32_e32 v20, 22, v20
	v_mul_lo_u16 v20, 0x63, v20
	s_delay_alu instid0(VALU_DEP_1) | instskip(NEXT) | instid1(VALU_DEP_1)
	v_sub_nc_u16 v20, v15, v20
	v_and_b32_e32 v20, 0xffff, v20
	s_delay_alu instid0(VALU_DEP_1)
	v_lshlrev_b32_e32 v23, 4, v20
	global_load_b128 v[33:36], v23, s[8:9] offset:720
	ds_load_2addr_b32 v[29:30], v19 offset0:41 offset1:140
	ds_load_2addr_b32 v[37:38], v21 offset0:111 offset1:210
	;; [unrolled: 1-line block ×3, first 2 shown]
	ds_load_b32 v23, v18
	ds_load_2addr_b32 v[41:42], v17 offset0:99 offset1:198
	v_add_nc_u32_e32 v31, 0x200, v17
	global_wb scope:SCOPE_SE
	s_wait_loadcnt_dscnt 0x0
	s_barrier_signal -1
	s_barrier_wait -1
	global_inv scope:SCOPE_SE
	v_mul_f32_e32 v46, v8, v28
	v_mul_f32_e32 v45, v38, v28
	v_dual_mul_f32 v47, v30, v26 :: v_dual_lshlrev_b32 v20, 2, v20
	v_mul_f32_e32 v44, v11, v26
	s_delay_alu instid0(VALU_DEP_3) | instskip(NEXT) | instid1(VALU_DEP_3)
	v_dual_mul_f32 v48, v39, v28 :: v_dual_fmac_f32 v45, v8, v27
	v_fmac_f32_e32 v47, v12, v25
	s_delay_alu instid0(VALU_DEP_4) | instskip(SKIP_4) | instid1(VALU_DEP_4)
	v_add3_u32 v20, 0, v20, v0
	v_mul_f32_e32 v0, v29, v26
	v_mul_f32_e32 v26, v12, v26
	;; [unrolled: 1-line block ×3, first 2 shown]
	v_fma_f32 v8, v38, v27, -v46
	v_dual_fmac_f32 v0, v11, v25 :: v_dual_add_nc_u32 v43, 0x800, v20
	v_fma_f32 v11, v29, v25, -v44
	v_add_f32_e32 v29, v5, v47
	v_fma_f32 v12, v30, v25, -v26
	s_delay_alu instid0(VALU_DEP_4)
	v_dual_fmac_f32 v48, v9, v27 :: v_dual_add_f32 v9, v24, v0
	v_add_f32_e32 v26, v0, v45
	v_fma_f32 v25, v39, v27, -v28
	v_sub_f32_e32 v27, v11, v8
	v_dual_add_f32 v28, v23, v11 :: v_dual_add_f32 v39, v41, v12
	v_dual_add_f32 v11, v11, v8 :: v_dual_sub_f32 v0, v0, v45
	v_fmac_f32_e32 v24, -0.5, v26
	v_dual_add_f32 v30, v47, v48 :: v_dual_add_f32 v9, v9, v45
	s_delay_alu instid0(VALU_DEP_3) | instskip(NEXT) | instid1(VALU_DEP_3)
	v_dual_sub_f32 v38, v12, v25 :: v_dual_fmac_f32 v23, -0.5, v11
	v_fmamk_f32 v11, v27, 0xbf5db3d7, v24
	v_fmac_f32_e32 v24, 0x3f5db3d7, v27
	s_delay_alu instid0(VALU_DEP_4) | instskip(SKIP_4) | instid1(VALU_DEP_1)
	v_fma_f32 v5, -0.5, v30, v5
	v_add_f32_e32 v26, v28, v8
	v_sub_f32_e32 v44, v47, v48
	ds_store_2addr_b32 v17, v9, v11 offset1:99
	v_mul_f32_e32 v27, v40, v36
	v_dual_add_f32 v12, v12, v25 :: v_dual_fmac_f32 v27, v10, v35
	s_delay_alu instid0(VALU_DEP_1) | instskip(SKIP_1) | instid1(VALU_DEP_1)
	v_fma_f32 v28, -0.5, v12, v41
	v_mul_f32_e32 v12, v37, v34
	v_fmac_f32_e32 v12, v7, v33
	s_delay_alu instid0(VALU_DEP_1) | instskip(SKIP_1) | instid1(VALU_DEP_2)
	v_dual_add_f32 v9, v6, v12 :: v_dual_mul_f32 v30, v7, v34
	v_mul_f32_e32 v34, v10, v36
	v_fma_f32 v7, v37, v33, -v30
	s_delay_alu instid0(VALU_DEP_2)
	v_fma_f32 v30, v40, v35, -v34
	v_dual_add_f32 v8, v29, v48 :: v_dual_fmamk_f32 v29, v0, 0x3f5db3d7, v23
	v_fmac_f32_e32 v23, 0xbf5db3d7, v0
	v_fmamk_f32 v0, v38, 0xbf5db3d7, v5
	v_fmac_f32_e32 v5, 0x3f5db3d7, v38
	v_sub_f32_e32 v11, v7, v30
	ds_store_2addr_b32 v31, v24, v8 offset0:70 offset1:169
	ds_store_2addr_b32 v19, v0, v5 offset0:140 offset1:239
	v_add_f32_e32 v0, v7, v30
	v_add_f32_e32 v24, v42, v7
	s_delay_alu instid0(VALU_DEP_2) | instskip(SKIP_2) | instid1(VALU_DEP_4)
	v_dual_add_f32 v5, v9, v27 :: v_dual_fmac_f32 v42, -0.5, v0
	v_add_f32_e32 v10, v12, v27
	v_sub_f32_e32 v27, v12, v27
	v_add_f32_e32 v24, v24, v30
	s_delay_alu instid0(VALU_DEP_3) | instskip(NEXT) | instid1(VALU_DEP_1)
	v_fmac_f32_e32 v6, -0.5, v10
	v_fmamk_f32 v8, v11, 0xbf5db3d7, v6
	v_fmac_f32_e32 v6, 0x3f5db3d7, v11
	ds_store_2addr_b32 v43, v5, v8 offset0:82 offset1:181
	ds_store_b32 v20, v6 offset:3168
	global_wb scope:SCOPE_SE
	s_wait_dscnt 0x0
	s_barrier_signal -1
	s_barrier_wait -1
	global_inv scope:SCOPE_SE
	ds_load_b32 v0, v18
	ds_load_2addr_b32 v[7:8], v19 offset0:41 offset1:140
	ds_load_2addr_b32 v[11:12], v21 offset0:111 offset1:210
	;; [unrolled: 1-line block ×4, first 2 shown]
	v_add_f32_e32 v21, v39, v25
	v_fmamk_f32 v25, v27, 0x3f5db3d7, v42
	v_fmamk_f32 v22, v44, 0x3f5db3d7, v28
	v_fmac_f32_e32 v28, 0xbf5db3d7, v44
	v_fmac_f32_e32 v42, 0xbf5db3d7, v27
	global_wb scope:SCOPE_SE
	s_wait_dscnt 0x0
	s_barrier_signal -1
	s_barrier_wait -1
	global_inv scope:SCOPE_SE
	ds_store_2addr_b32 v17, v26, v29 offset1:99
	ds_store_2addr_b32 v31, v23, v21 offset0:70 offset1:169
	ds_store_2addr_b32 v19, v22, v28 offset0:140 offset1:239
	;; [unrolled: 1-line block ×3, first 2 shown]
	ds_store_b32 v20, v42 offset:3168
	global_wb scope:SCOPE_SE
	s_wait_dscnt 0x0
	s_barrier_signal -1
	s_barrier_wait -1
	global_inv scope:SCOPE_SE
	s_and_saveexec_b32 s0, vcc_lo
	s_cbranch_execz .LBB0_23
; %bb.22:
	v_lshlrev_b32_e32 v15, 1, v15
	v_mul_hi_u32 v33, 0xdca8f159, v32
	v_add_nc_u32_e32 v35, 0x63, v32
	v_add_nc_u32_e32 v31, 0x600, v17
	;; [unrolled: 1-line block ×3, first 2 shown]
	v_lshlrev_b64_e32 v[19:20], 3, v[15:16]
	v_lshl_add_u32 v15, v32, 1, 0xc6
	v_mul_hi_u32 v38, 0xdca8f159, v35
	v_add_nc_u32_e32 v37, 0x400, v17
	v_lshrrev_b32_e32 v33, 8, v33
	v_mul_lo_u32 v29, s3, v3
	v_lshlrev_b64_e32 v[23:24], 3, v[15:16]
	v_add_co_u32 v19, vcc_lo, s8, v19
	s_wait_alu 0xfffd
	v_add_co_ci_u32_e32 v20, vcc_lo, s9, v20, vcc_lo
	v_lshrrev_b32_e32 v38, 8, v38
	s_delay_alu instid0(VALU_DEP_4)
	v_add_co_u32 v23, vcc_lo, s8, v23
	s_wait_alu 0xfffd
	v_add_co_ci_u32_e32 v24, vcc_lo, s9, v24, vcc_lo
	s_clause 0x1
	global_load_b128 v[19:22], v[19:20], off offset:2304
	global_load_b128 v[13:16], v[13:14], off offset:2304
	ds_load_2addr_b32 v[27:28], v17 offset0:99 offset1:198
	ds_load_b32 v54, v18
	global_load_b128 v[23:26], v[23:24], off offset:2304
	ds_load_2addr_b32 v[17:18], v31 offset0:111 offset1:210
	v_mul_u32_u24_e32 v31, 0x129, v33
	v_mul_lo_u32 v30, s2, v4
	v_mad_co_u64_u32 v[3:4], null, s2, v3, 0
	v_lshlrev_b64_e32 v[1:2], 3, v[1:2]
	s_delay_alu instid0(VALU_DEP_4) | instskip(SKIP_1) | instid1(VALU_DEP_4)
	v_sub_nc_u32_e32 v40, v32, v31
	v_mul_u32_u24_e32 v31, 0x129, v38
	v_add3_u32 v4, v4, v30, v29
	s_delay_alu instid0(VALU_DEP_2)
	v_sub_nc_u32_e32 v31, v35, v31
	ds_load_2addr_b32 v[29:30], v34 offset0:53 offset1:152
	ds_load_2addr_b32 v[33:34], v37 offset0:41 offset1:140
	v_add_nc_u32_e32 v50, 0x252, v40
	v_lshlrev_b64_e32 v[3:4], 3, v[3:4]
	v_mad_u32_u24 v51, 0x37b, v38, v31
	s_delay_alu instid0(VALU_DEP_1) | instskip(NEXT) | instid1(VALU_DEP_3)
	v_add_nc_u32_e32 v57, 0x252, v51
	v_add_co_u32 v37, vcc_lo, s6, v3
	s_wait_alu 0xfffd
	s_delay_alu instid0(VALU_DEP_4) | instskip(NEXT) | instid1(VALU_DEP_3)
	v_add_co_ci_u32_e32 v41, vcc_lo, s7, v4, vcc_lo
	v_mad_co_u64_u32 v[42:43], null, s16, v57, 0
	v_add_nc_u32_e32 v36, 0xc6, v32
	v_mad_co_u64_u32 v[3:4], null, s16, v40, 0
	v_add_co_u32 v55, vcc_lo, v37, v1
	s_delay_alu instid0(VALU_DEP_3) | instskip(SKIP_3) | instid1(VALU_DEP_3)
	v_mul_hi_u32 v39, 0xdca8f159, v36
	s_wait_alu 0xfffd
	v_add_co_ci_u32_e32 v56, vcc_lo, v41, v2, vcc_lo
	v_add_nc_u32_e32 v53, 0x129, v51
	v_lshrrev_b32_e32 v39, 8, v39
	s_delay_alu instid0(VALU_DEP_1) | instskip(NEXT) | instid1(VALU_DEP_1)
	v_mul_u32_u24_e32 v32, 0x129, v39
	v_sub_nc_u32_e32 v35, v36, v32
	v_mad_co_u64_u32 v[31:32], null, s16, v50, 0
	s_delay_alu instid0(VALU_DEP_2) | instskip(SKIP_1) | instid1(VALU_DEP_2)
	v_mad_u32_u24 v52, 0x37b, v39, v35
	v_mad_co_u64_u32 v[35:36], null, s16, v51, 0
	v_add_nc_u32_e32 v59, 0x252, v52
	v_mad_co_u64_u32 v[37:38], null, s16, v52, 0
	s_delay_alu instid0(VALU_DEP_2) | instskip(SKIP_3) | instid1(VALU_DEP_3)
	v_mad_co_u64_u32 v[46:47], null, s16, v59, 0
	v_add_nc_u32_e32 v48, 0x129, v40
	v_mad_co_u64_u32 v[39:40], null, s17, v40, v[4:5]
	v_mad_co_u64_u32 v[40:41], null, s16, v53, 0
	;; [unrolled: 1-line block ×3, first 2 shown]
	v_mov_b32_e32 v4, v32
	v_mov_b32_e32 v32, v38
	s_delay_alu instid0(VALU_DEP_3) | instskip(SKIP_1) | instid1(VALU_DEP_4)
	v_mad_co_u64_u32 v[48:49], null, s17, v48, v[2:3]
	v_mov_b32_e32 v2, v36
	v_mad_co_u64_u32 v[49:50], null, s17, v50, v[4:5]
	v_mov_b32_e32 v4, v39
	v_mov_b32_e32 v36, v41
	s_delay_alu instid0(VALU_DEP_4) | instskip(SKIP_2) | instid1(VALU_DEP_4)
	v_mad_co_u64_u32 v[38:39], null, s17, v51, v[2:3]
	v_mov_b32_e32 v39, v43
	v_dual_mov_b32 v43, v47 :: v_dual_mov_b32 v2, v48
	v_mad_co_u64_u32 v[47:48], null, s17, v53, v[36:37]
	s_wait_dscnt 0x0
	v_mad_co_u64_u32 v[50:51], null, s17, v52, v[32:33]
	v_mov_b32_e32 v32, v49
	v_mad_co_u64_u32 v[48:49], null, s17, v57, v[39:40]
	v_add_nc_u32_e32 v58, 0x129, v52
	v_lshlrev_b64_e32 v[3:4], 3, v[3:4]
	v_lshlrev_b64_e32 v[1:2], 3, v[1:2]
	;; [unrolled: 1-line block ×3, first 2 shown]
	s_delay_alu instid0(VALU_DEP_4) | instskip(NEXT) | instid1(VALU_DEP_4)
	v_mad_co_u64_u32 v[44:45], null, s16, v58, 0
	v_add_co_u32 v3, vcc_lo, v55, v3
	s_wait_alu 0xfffd
	v_add_co_ci_u32_e32 v4, vcc_lo, v56, v4, vcc_lo
	v_add_co_u32 v1, vcc_lo, v55, v1
	s_delay_alu instid0(VALU_DEP_4) | instskip(SKIP_3) | instid1(VALU_DEP_3)
	v_mov_b32_e32 v41, v45
	s_wait_alu 0xfffd
	v_add_co_ci_u32_e32 v2, vcc_lo, v56, v2, vcc_lo
	v_add_co_u32 v31, vcc_lo, v55, v31
	v_mad_co_u64_u32 v[51:52], null, s17, v58, v[41:42]
	v_mad_co_u64_u32 v[52:53], null, s17, v59, v[43:44]
	v_dual_mov_b32 v43, v48 :: v_dual_mov_b32 v36, v38
	v_dual_mov_b32 v38, v50 :: v_dual_mov_b32 v41, v47
	s_delay_alu instid0(VALU_DEP_4)
	v_mov_b32_e32 v45, v51
	s_wait_alu 0xfffd
	v_add_co_ci_u32_e32 v32, vcc_lo, v56, v32, vcc_lo
	v_mov_b32_e32 v47, v52
	v_lshlrev_b64_e32 v[39:40], 3, v[40:41]
	v_lshlrev_b64_e32 v[41:42], 3, v[42:43]
	;; [unrolled: 1-line block ×6, first 2 shown]
	s_delay_alu instid0(VALU_DEP_3) | instskip(SKIP_1) | instid1(VALU_DEP_4)
	v_add_co_u32 v35, vcc_lo, v55, v35
	s_wait_alu 0xfffd
	v_add_co_ci_u32_e32 v36, vcc_lo, v56, v36, vcc_lo
	s_delay_alu instid0(VALU_DEP_3)
	v_add_co_u32 v37, vcc_lo, v55, v37
	s_wait_alu 0xfffd
	v_add_co_ci_u32_e32 v38, vcc_lo, v56, v38, vcc_lo
	v_add_co_u32 v39, vcc_lo, v55, v39
	s_wait_alu 0xfffd
	v_add_co_ci_u32_e32 v40, vcc_lo, v56, v40, vcc_lo
	;; [unrolled: 3-line block ×5, first 2 shown]
	s_wait_loadcnt 0x2
	v_dual_mul_f32 v47, v11, v20 :: v_dual_mul_f32 v48, v10, v22
	s_wait_loadcnt 0x1
	v_dual_mul_f32 v20, v17, v20 :: v_dual_mul_f32 v49, v7, v14
	v_mul_f32_e32 v14, v33, v14
	s_delay_alu instid0(VALU_DEP_3)
	v_fma_f32 v17, v17, v19, -v47
	v_mul_f32_e32 v50, v12, v16
	s_wait_loadcnt 0x0
	v_dual_fmac_f32 v20, v11, v19 :: v_dual_mul_f32 v19, v34, v24
	v_mul_f32_e32 v22, v30, v22
	v_mul_f32_e32 v16, v18, v16
	v_fma_f32 v30, v30, v21, -v48
	v_mul_f32_e32 v11, v9, v26
	s_delay_alu instid0(VALU_DEP_4)
	v_dual_fmac_f32 v19, v8, v23 :: v_dual_fmac_f32 v22, v10, v21
	v_dual_mul_f32 v21, v29, v26 :: v_dual_mul_f32 v10, v8, v24
	v_fma_f32 v24, v33, v13, -v49
	v_fma_f32 v18, v18, v15, -v50
	v_dual_fmac_f32 v14, v7, v13 :: v_dual_add_f32 v7, v17, v30
	v_dual_fmac_f32 v16, v12, v15 :: v_dual_add_f32 v15, v6, v20
	v_dual_add_f32 v12, v28, v17 :: v_dual_sub_f32 v17, v17, v30
	v_add_f32_e32 v13, v20, v22
	v_sub_f32_e32 v26, v20, v22
	v_fma_f32 v20, v29, v25, -v11
	v_fmac_f32_e32 v21, v9, v25
	v_fma_f32 v10, v34, v23, -v10
	v_sub_f32_e32 v23, v14, v16
	v_add_f32_e32 v11, v24, v18
	v_add_f32_e32 v25, v14, v16
	v_dual_sub_f32 v29, v24, v18 :: v_dual_add_f32 v24, v54, v24
	v_dual_add_f32 v14, v0, v14 :: v_dual_sub_f32 v33, v10, v20
	v_fma_f32 v7, -0.5, v7, v28
	v_dual_add_f32 v9, v12, v30 :: v_dual_sub_f32 v28, v19, v21
	v_fma_f32 v6, -0.5, v13, v6
	v_dual_add_f32 v8, v15, v22 :: v_dual_add_f32 v47, v5, v19
	v_add_f32_e32 v22, v10, v20
	v_dual_add_f32 v30, v19, v21 :: v_dual_add_f32 v13, v24, v18
	v_dual_add_f32 v34, v27, v10 :: v_dual_fmamk_f32 v15, v26, 0xbf5db3d7, v7
	v_fma_f32 v11, -0.5, v11, v54
	v_fma_f32 v10, -0.5, v25, v0
	v_dual_add_f32 v12, v14, v16 :: v_dual_fmac_f32 v7, 0x3f5db3d7, v26
	s_delay_alu instid0(VALU_DEP_4)
	v_dual_fmamk_f32 v14, v17, 0x3f5db3d7, v6 :: v_dual_add_f32 v19, v34, v20
	v_fmac_f32_e32 v6, 0xbf5db3d7, v17
	v_fma_f32 v17, -0.5, v22, v27
	v_fma_f32 v16, -0.5, v30, v5
	v_add_f32_e32 v18, v47, v21
	v_fmamk_f32 v21, v23, 0xbf5db3d7, v11
	v_dual_fmac_f32 v11, 0x3f5db3d7, v23 :: v_dual_fmamk_f32 v20, v29, 0x3f5db3d7, v10
	v_dual_fmac_f32 v10, 0xbf5db3d7, v29 :: v_dual_fmamk_f32 v23, v28, 0xbf5db3d7, v17
	v_dual_fmamk_f32 v22, v33, 0x3f5db3d7, v16 :: v_dual_fmac_f32 v17, 0x3f5db3d7, v28
	v_fmac_f32_e32 v16, 0xbf5db3d7, v33
	s_clause 0x8
	global_store_b64 v[3:4], v[12:13], off
	global_store_b64 v[1:2], v[10:11], off
	;; [unrolled: 1-line block ×9, first 2 shown]
.LBB0_23:
	s_nop 0
	s_sendmsg sendmsg(MSG_DEALLOC_VGPRS)
	s_endpgm
	.section	.rodata,"a",@progbits
	.p2align	6, 0x0
	.amdhsa_kernel fft_rtc_back_len891_factors_9_11_3_3_wgs_198_tpt_99_halfLds_sp_op_CI_CI_sbrr_dirReg
		.amdhsa_group_segment_fixed_size 0
		.amdhsa_private_segment_fixed_size 0
		.amdhsa_kernarg_size 104
		.amdhsa_user_sgpr_count 2
		.amdhsa_user_sgpr_dispatch_ptr 0
		.amdhsa_user_sgpr_queue_ptr 0
		.amdhsa_user_sgpr_kernarg_segment_ptr 1
		.amdhsa_user_sgpr_dispatch_id 0
		.amdhsa_user_sgpr_private_segment_size 0
		.amdhsa_wavefront_size32 1
		.amdhsa_uses_dynamic_stack 0
		.amdhsa_enable_private_segment 0
		.amdhsa_system_sgpr_workgroup_id_x 1
		.amdhsa_system_sgpr_workgroup_id_y 0
		.amdhsa_system_sgpr_workgroup_id_z 0
		.amdhsa_system_sgpr_workgroup_info 0
		.amdhsa_system_vgpr_workitem_id 0
		.amdhsa_next_free_vgpr 67
		.amdhsa_next_free_sgpr 43
		.amdhsa_reserve_vcc 1
		.amdhsa_float_round_mode_32 0
		.amdhsa_float_round_mode_16_64 0
		.amdhsa_float_denorm_mode_32 3
		.amdhsa_float_denorm_mode_16_64 3
		.amdhsa_fp16_overflow 0
		.amdhsa_workgroup_processor_mode 1
		.amdhsa_memory_ordered 1
		.amdhsa_forward_progress 0
		.amdhsa_round_robin_scheduling 0
		.amdhsa_exception_fp_ieee_invalid_op 0
		.amdhsa_exception_fp_denorm_src 0
		.amdhsa_exception_fp_ieee_div_zero 0
		.amdhsa_exception_fp_ieee_overflow 0
		.amdhsa_exception_fp_ieee_underflow 0
		.amdhsa_exception_fp_ieee_inexact 0
		.amdhsa_exception_int_div_zero 0
	.end_amdhsa_kernel
	.text
.Lfunc_end0:
	.size	fft_rtc_back_len891_factors_9_11_3_3_wgs_198_tpt_99_halfLds_sp_op_CI_CI_sbrr_dirReg, .Lfunc_end0-fft_rtc_back_len891_factors_9_11_3_3_wgs_198_tpt_99_halfLds_sp_op_CI_CI_sbrr_dirReg
                                        ; -- End function
	.section	.AMDGPU.csdata,"",@progbits
; Kernel info:
; codeLenInByte = 8352
; NumSgprs: 45
; NumVgprs: 67
; ScratchSize: 0
; MemoryBound: 0
; FloatMode: 240
; IeeeMode: 1
; LDSByteSize: 0 bytes/workgroup (compile time only)
; SGPRBlocks: 5
; VGPRBlocks: 8
; NumSGPRsForWavesPerEU: 45
; NumVGPRsForWavesPerEU: 67
; Occupancy: 16
; WaveLimiterHint : 1
; COMPUTE_PGM_RSRC2:SCRATCH_EN: 0
; COMPUTE_PGM_RSRC2:USER_SGPR: 2
; COMPUTE_PGM_RSRC2:TRAP_HANDLER: 0
; COMPUTE_PGM_RSRC2:TGID_X_EN: 1
; COMPUTE_PGM_RSRC2:TGID_Y_EN: 0
; COMPUTE_PGM_RSRC2:TGID_Z_EN: 0
; COMPUTE_PGM_RSRC2:TIDIG_COMP_CNT: 0
	.text
	.p2alignl 7, 3214868480
	.fill 96, 4, 3214868480
	.type	__hip_cuid_63e4df9b5a7b1215,@object ; @__hip_cuid_63e4df9b5a7b1215
	.section	.bss,"aw",@nobits
	.globl	__hip_cuid_63e4df9b5a7b1215
__hip_cuid_63e4df9b5a7b1215:
	.byte	0                               ; 0x0
	.size	__hip_cuid_63e4df9b5a7b1215, 1

	.ident	"AMD clang version 19.0.0git (https://github.com/RadeonOpenCompute/llvm-project roc-6.4.0 25133 c7fe45cf4b819c5991fe208aaa96edf142730f1d)"
	.section	".note.GNU-stack","",@progbits
	.addrsig
	.addrsig_sym __hip_cuid_63e4df9b5a7b1215
	.amdgpu_metadata
---
amdhsa.kernels:
  - .args:
      - .actual_access:  read_only
        .address_space:  global
        .offset:         0
        .size:           8
        .value_kind:     global_buffer
      - .offset:         8
        .size:           8
        .value_kind:     by_value
      - .actual_access:  read_only
        .address_space:  global
        .offset:         16
        .size:           8
        .value_kind:     global_buffer
      - .actual_access:  read_only
        .address_space:  global
        .offset:         24
        .size:           8
        .value_kind:     global_buffer
      - .actual_access:  read_only
        .address_space:  global
        .offset:         32
        .size:           8
        .value_kind:     global_buffer
      - .offset:         40
        .size:           8
        .value_kind:     by_value
      - .actual_access:  read_only
        .address_space:  global
        .offset:         48
        .size:           8
        .value_kind:     global_buffer
      - .actual_access:  read_only
        .address_space:  global
        .offset:         56
        .size:           8
        .value_kind:     global_buffer
      - .offset:         64
        .size:           4
        .value_kind:     by_value
      - .actual_access:  read_only
        .address_space:  global
        .offset:         72
        .size:           8
        .value_kind:     global_buffer
      - .actual_access:  read_only
        .address_space:  global
        .offset:         80
        .size:           8
        .value_kind:     global_buffer
      - .actual_access:  read_only
        .address_space:  global
        .offset:         88
        .size:           8
        .value_kind:     global_buffer
      - .actual_access:  write_only
        .address_space:  global
        .offset:         96
        .size:           8
        .value_kind:     global_buffer
    .group_segment_fixed_size: 0
    .kernarg_segment_align: 8
    .kernarg_segment_size: 104
    .language:       OpenCL C
    .language_version:
      - 2
      - 0
    .max_flat_workgroup_size: 198
    .name:           fft_rtc_back_len891_factors_9_11_3_3_wgs_198_tpt_99_halfLds_sp_op_CI_CI_sbrr_dirReg
    .private_segment_fixed_size: 0
    .sgpr_count:     45
    .sgpr_spill_count: 0
    .symbol:         fft_rtc_back_len891_factors_9_11_3_3_wgs_198_tpt_99_halfLds_sp_op_CI_CI_sbrr_dirReg.kd
    .uniform_work_group_size: 1
    .uses_dynamic_stack: false
    .vgpr_count:     67
    .vgpr_spill_count: 0
    .wavefront_size: 32
    .workgroup_processor_mode: 1
amdhsa.target:   amdgcn-amd-amdhsa--gfx1201
amdhsa.version:
  - 1
  - 2
...

	.end_amdgpu_metadata
